;; amdgpu-corpus repo=ROCm/rocFFT kind=compiled arch=gfx1030 opt=O3
	.text
	.amdgcn_target "amdgcn-amd-amdhsa--gfx1030"
	.amdhsa_code_object_version 6
	.protected	bluestein_single_fwd_len160_dim1_sp_op_CI_CI ; -- Begin function bluestein_single_fwd_len160_dim1_sp_op_CI_CI
	.globl	bluestein_single_fwd_len160_dim1_sp_op_CI_CI
	.p2align	8
	.type	bluestein_single_fwd_len160_dim1_sp_op_CI_CI,@function
bluestein_single_fwd_len160_dim1_sp_op_CI_CI: ; @bluestein_single_fwd_len160_dim1_sp_op_CI_CI
; %bb.0:
	s_load_dwordx4 s[0:3], s[4:5], 0x28
	v_lshrrev_b32_e32 v1, 4, v0
	v_mov_b32_e32 v49, 0
	v_lshl_or_b32 v48, s6, 4, v1
	s_waitcnt lgkmcnt(0)
	v_cmp_gt_u64_e32 vcc_lo, s[0:1], v[48:49]
	s_and_saveexec_b32 s0, vcc_lo
	s_cbranch_execz .LBB0_15
; %bb.1:
	s_clause 0x1
	s_load_dwordx2 s[6:7], s[4:5], 0x0
	s_load_dwordx2 s[12:13], s[4:5], 0x38
	v_and_b32_e32 v54, 15, v0
	v_mul_u32_u24_e32 v55, 0xa0, v1
	v_cmp_gt_u32_e32 vcc_lo, 10, v54
	v_lshlrev_b32_e32 v53, 3, v54
	v_or_b32_e32 v32, v55, v54
	v_add_lshl_u32 v0, v55, v54, 3
	s_and_saveexec_b32 s1, vcc_lo
	s_cbranch_execz .LBB0_3
; %bb.2:
	s_load_dwordx2 s[8:9], s[4:5], 0x18
	v_lshlrev_b32_e32 v31, 3, v32
	v_lshl_add_u32 v47, v55, 3, v53
	s_waitcnt lgkmcnt(0)
	s_load_dwordx4 s[8:11], s[8:9], 0x0
	s_waitcnt lgkmcnt(0)
	v_mad_u64_u32 v[1:2], null, s10, v48, 0
	v_mad_u64_u32 v[3:4], null, s8, v54, 0
	s_mul_hi_u32 s10, s8, 0x50
	v_mad_u64_u32 v[5:6], null, s11, v48, v[2:3]
	v_mad_u64_u32 v[6:7], null, s9, v54, v[4:5]
	v_mov_b32_e32 v2, v5
	s_mulk_i32 s9, 0x50
	s_clause 0x3
	global_load_dwordx2 v[7:8], v53, s[6:7]
	global_load_dwordx2 v[9:10], v53, s[6:7] offset:80
	global_load_dwordx2 v[11:12], v53, s[6:7] offset:160
	;; [unrolled: 1-line block ×3, first 2 shown]
	s_add_i32 s10, s10, s9
	v_lshlrev_b64 v[1:2], 3, v[1:2]
	v_mov_b32_e32 v4, v6
	s_clause 0x9
	global_load_dwordx2 v[5:6], v53, s[6:7] offset:320
	global_load_dwordx2 v[15:16], v53, s[6:7] offset:400
	;; [unrolled: 1-line block ×10, first 2 shown]
	v_lshlrev_b64 v[3:4], 3, v[3:4]
	v_add_co_u32 v1, s0, s2, v1
	v_add_co_ci_u32_e64 v2, s0, s3, v2, s0
	s_mul_i32 s2, s8, 0x50
	v_add_co_u32 v1, s0, v1, v3
	v_add_co_ci_u32_e64 v2, s0, v2, v4, s0
	v_add_co_u32 v3, s0, v1, s2
	v_add_co_ci_u32_e64 v4, s0, s10, v2, s0
	global_load_dwordx2 v[1:2], v[1:2], off
	v_add_co_u32 v29, s0, v3, s2
	v_add_co_ci_u32_e64 v30, s0, s10, v4, s0
	v_add_co_u32 v37, s0, v29, s2
	v_add_co_ci_u32_e64 v38, s0, s10, v30, s0
	;; [unrolled: 2-line block ×3, first 2 shown]
	s_clause 0x2
	global_load_dwordx2 v[3:4], v[3:4], off
	global_load_dwordx2 v[29:30], v[29:30], off
	;; [unrolled: 1-line block ×3, first 2 shown]
	v_add_co_u32 v41, s0, v39, s2
	v_add_co_ci_u32_e64 v42, s0, s10, v40, s0
	global_load_dwordx2 v[39:40], v[39:40], off
	v_add_co_u32 v43, s0, v41, s2
	v_add_co_ci_u32_e64 v44, s0, s10, v42, s0
	global_load_dwordx2 v[41:42], v[41:42], off
	;; [unrolled: 3-line block ×11, first 2 shown]
	s_clause 0x1
	global_load_dwordx2 v[68:69], v53, s[6:7] offset:1120
	global_load_dwordx2 v[70:71], v53, s[6:7] offset:1200
	global_load_dwordx2 v[66:67], v[66:67], off
	s_waitcnt vmcnt(17)
	v_mul_f32_e32 v72, v2, v8
	v_mul_f32_e32 v8, v1, v8
	v_fmac_f32_e32 v72, v1, v7
	v_fma_f32 v73, v2, v7, -v8
	ds_write_b64 v31, v[72:73]
	s_waitcnt vmcnt(16)
	v_mul_f32_e32 v1, v4, v10
	v_mul_f32_e32 v2, v3, v10
	s_waitcnt vmcnt(15)
	v_mul_f32_e32 v7, v30, v12
	v_mul_f32_e32 v8, v29, v12
	v_fmac_f32_e32 v1, v3, v9
	s_waitcnt vmcnt(14)
	v_mul_f32_e32 v3, v38, v14
	v_fma_f32 v2, v4, v9, -v2
	v_mul_f32_e32 v4, v37, v14
	v_fmac_f32_e32 v7, v29, v11
	v_fma_f32 v8, v30, v11, -v8
	s_waitcnt vmcnt(13)
	v_mul_f32_e32 v9, v40, v6
	v_mul_f32_e32 v6, v39, v6
	s_waitcnt vmcnt(12)
	v_mul_f32_e32 v11, v42, v16
	v_mul_f32_e32 v12, v41, v16
	v_fmac_f32_e32 v3, v37, v13
	v_fma_f32 v4, v38, v13, -v4
	v_fmac_f32_e32 v9, v39, v5
	v_fma_f32 v10, v40, v5, -v6
	;; [unrolled: 2-line block ×3, first 2 shown]
	ds_write_b64 v0, v[1:2] offset:80
	ds_write2_b64 v47, v[7:8], v[3:4] offset0:20 offset1:30
	s_waitcnt vmcnt(11)
	v_mul_f32_e32 v1, v44, v18
	v_mul_f32_e32 v2, v43, v18
	s_waitcnt vmcnt(10)
	v_mul_f32_e32 v3, v46, v20
	v_mul_f32_e32 v4, v45, v20
	ds_write2_b64 v47, v[9:10], v[11:12] offset0:40 offset1:50
	s_waitcnt vmcnt(9)
	v_mul_f32_e32 v5, v50, v22
	v_mul_f32_e32 v6, v49, v22
	v_fmac_f32_e32 v1, v43, v17
	v_fma_f32 v2, v44, v17, -v2
	v_fmac_f32_e32 v3, v45, v19
	s_waitcnt vmcnt(8)
	v_mul_f32_e32 v7, v52, v24
	v_mul_f32_e32 v8, v51, v24
	v_fma_f32 v4, v46, v19, -v4
	v_fmac_f32_e32 v5, v49, v21
	v_fma_f32 v6, v50, v21, -v6
	s_waitcnt vmcnt(7)
	v_mul_f32_e32 v9, v57, v26
	v_mul_f32_e32 v10, v56, v26
	v_fmac_f32_e32 v7, v51, v23
	v_fma_f32 v8, v52, v23, -v8
	s_waitcnt vmcnt(6)
	v_mul_f32_e32 v11, v59, v28
	v_mul_f32_e32 v12, v58, v28
	;; [unrolled: 5-line block ×4, first 2 shown]
	v_fmac_f32_e32 v13, v60, v33
	s_waitcnt vmcnt(2)
	v_mul_f32_e32 v17, v65, v69
	v_mul_f32_e32 v18, v64, v69
	s_waitcnt vmcnt(0)
	v_mul_f32_e32 v19, v67, v71
	v_mul_f32_e32 v20, v66, v71
	v_fma_f32 v14, v61, v33, -v14
	v_fmac_f32_e32 v15, v62, v35
	v_fma_f32 v16, v63, v35, -v16
	v_fmac_f32_e32 v17, v64, v68
	v_fma_f32 v18, v65, v68, -v18
	v_fmac_f32_e32 v19, v66, v70
	v_fma_f32 v20, v67, v70, -v20
	ds_write2_b64 v47, v[1:2], v[3:4] offset0:60 offset1:70
	ds_write2_b64 v47, v[5:6], v[7:8] offset0:80 offset1:90
	;; [unrolled: 1-line block ×5, first 2 shown]
.LBB0_3:
	s_or_b32 exec_lo, exec_lo, s1
	s_load_dwordx2 s[0:1], s[4:5], 0x20
	v_lshlrev_b32_e32 v33, 3, v55
	s_waitcnt lgkmcnt(0)
	s_barrier
	buffer_gl0_inv
                                        ; implicit-def: $vgpr18
                                        ; implicit-def: $vgpr26
                                        ; implicit-def: $vgpr14
                                        ; implicit-def: $vgpr22
                                        ; implicit-def: $vgpr6
                                        ; implicit-def: $vgpr10
                                        ; implicit-def: $vgpr2
                                        ; implicit-def: $vgpr28
                                        ; implicit-def: $vgpr30
	s_and_saveexec_b32 s2, vcc_lo
	s_cbranch_execz .LBB0_5
; %bb.4:
	v_lshlrev_b32_e32 v1, 3, v32
	v_lshl_add_u32 v16, v54, 3, v33
	ds_read_b64 v[30:31], v1
	ds_read_b64 v[28:29], v0 offset:80
	ds_read2_b64 v[0:3], v16 offset0:20 offset1:30
	ds_read2_b64 v[8:11], v16 offset0:40 offset1:50
	;; [unrolled: 1-line block ×7, first 2 shown]
.LBB0_5:
	s_or_b32 exec_lo, exec_lo, s2
	s_waitcnt lgkmcnt(3)
	v_sub_f32_e32 v20, v30, v20
	s_waitcnt lgkmcnt(1)
	v_sub_f32_e32 v24, v8, v24
	v_sub_f32_e32 v13, v1, v13
	s_waitcnt lgkmcnt(0)
	v_sub_f32_e32 v16, v4, v16
	v_sub_f32_e32 v21, v31, v21
	v_fma_f32 v30, v30, 2.0, -v20
	v_sub_f32_e32 v25, v9, v25
	v_sub_f32_e32 v12, v0, v12
	v_fma_f32 v8, v8, 2.0, -v24
	v_fma_f32 v35, v1, 2.0, -v13
	v_sub_f32_e32 v17, v5, v17
	v_fma_f32 v1, v4, 2.0, -v16
	v_sub_f32_e32 v4, v28, v22
	v_sub_f32_e32 v22, v29, v23
	;; [unrolled: 1-line block ×3, first 2 shown]
	v_fma_f32 v31, v31, 2.0, -v21
	v_fma_f32 v9, v9, 2.0, -v25
	;; [unrolled: 1-line block ×4, first 2 shown]
	v_sub_f32_e32 v26, v11, v27
	v_fma_f32 v27, v28, 2.0, -v4
	v_fma_f32 v10, v10, 2.0, -v23
	v_sub_f32_e32 v14, v2, v14
	v_sub_f32_e32 v18, v6, v18
	;; [unrolled: 1-line block ×4, first 2 shown]
	v_add_f32_e32 v24, v24, v21
	v_sub_f32_e32 v17, v12, v17
	v_fma_f32 v28, v29, 2.0, -v22
	v_sub_f32_e32 v15, v3, v15
	v_sub_f32_e32 v19, v7, v19
	v_fma_f32 v29, v2, 2.0, -v14
	v_fma_f32 v38, v6, 2.0, -v18
	v_sub_f32_e32 v39, v31, v9
	v_fma_f32 v0, v30, 2.0, -v36
	v_sub_f32_e32 v30, v34, v1
	v_sub_f32_e32 v40, v35, v5
	v_fma_f32 v2, v20, 2.0, -v25
	v_fma_f32 v6, v21, 2.0, -v24
	v_add_f32_e32 v16, v16, v13
	v_sub_f32_e32 v21, v27, v10
	v_fma_f32 v10, v12, 2.0, -v17
	v_fma_f32 v11, v11, 2.0, -v26
	;; [unrolled: 1-line block ×5, first 2 shown]
	v_sub_f32_e32 v26, v4, v26
	v_fma_f32 v13, v13, 2.0, -v16
	v_add_f32_e32 v23, v23, v22
	v_sub_f32_e32 v19, v14, v19
	v_add_f32_e32 v18, v18, v15
	v_fmamk_f32 v12, v10, 0xbf3504f3, v2
	v_add_f32_e32 v35, v30, v39
	v_fma_f32 v1, v31, 2.0, -v39
	v_fma_f32 v9, v34, 2.0, -v30
	;; [unrolled: 1-line block ×3, first 2 shown]
	v_sub_f32_e32 v27, v29, v38
	v_sub_f32_e32 v38, v37, v7
	v_fma_f32 v43, v15, 2.0, -v18
	v_fmamk_f32 v15, v13, 0xbf3504f3, v6
	v_fmamk_f32 v31, v17, 0x3f3504f3, v25
	;; [unrolled: 1-line block ×3, first 2 shown]
	v_fmac_f32_e32 v12, 0xbf3504f3, v13
	v_sub_f32_e32 v7, v36, v40
	v_fma_f32 v13, v39, 2.0, -v35
	v_fmamk_f32 v39, v19, 0x3f3504f3, v26
	v_fmamk_f32 v40, v18, 0x3f3504f3, v23
	v_sub_f32_e32 v41, v28, v11
	v_fma_f32 v8, v4, 2.0, -v26
	v_fma_f32 v11, v22, 2.0, -v23
	;; [unrolled: 1-line block ×3, first 2 shown]
	v_fmac_f32_e32 v31, 0xbf3504f3, v16
	v_fmac_f32_e32 v34, 0x3f3504f3, v17
	;; [unrolled: 1-line block ×4, first 2 shown]
	s_load_dwordx2 s[2:3], s[4:5], 0x8
	v_fma_f32 v22, v29, 2.0, -v27
	v_fma_f32 v29, v37, 2.0, -v38
	v_fmac_f32_e32 v15, 0x3f3504f3, v10
	v_fma_f32 v10, v36, 2.0, -v7
	v_fma_f32 v14, v25, 2.0, -v31
	;; [unrolled: 1-line block ×3, first 2 shown]
	v_fmamk_f32 v36, v42, 0xbf3504f3, v8
	v_sub_f32_e32 v38, v21, v38
	v_add_f32_e32 v44, v27, v41
	v_fmamk_f32 v37, v43, 0xbf3504f3, v11
	v_fma_f32 v19, v26, 2.0, -v39
	v_fma_f32 v18, v23, 2.0, -v40
	;; [unrolled: 1-line block ×3, first 2 shown]
	v_sub_f32_e32 v28, v3, v22
	v_fma_f32 v16, v21, 2.0, -v38
	v_fma_f32 v17, v41, 2.0, -v44
	v_fmac_f32_e32 v36, 0xbf3504f3, v43
	v_fmamk_f32 v22, v19, 0xbec3ef15, v14
	v_fmac_f32_e32 v37, 0x3f3504f3, v42
	v_fmamk_f32 v23, v18, 0xbec3ef15, v30
	v_sub_f32_e32 v4, v0, v9
	v_sub_f32_e32 v9, v1, v20
	v_sub_f32_e32 v29, v5, v29
	v_fmamk_f32 v20, v16, 0xbf3504f3, v10
	v_fmamk_f32 v21, v17, 0xbf3504f3, v13
	v_fmac_f32_e32 v22, 0xbf6c835e, v18
	v_fmamk_f32 v18, v36, 0x3ec3ef15, v12
	v_fmac_f32_e32 v23, 0x3f6c835e, v19
	v_fmamk_f32 v19, v37, 0x3ec3ef15, v15
	v_fmamk_f32 v24, v38, 0x3f3504f3, v7
	;; [unrolled: 1-line block ×5, first 2 shown]
	v_fmac_f32_e32 v20, 0xbf3504f3, v17
	v_fmac_f32_e32 v21, 0x3f3504f3, v16
	v_sub_f32_e32 v16, v4, v29
	v_add_f32_e32 v17, v28, v9
	v_fmac_f32_e32 v18, 0xbf6c835e, v37
	v_fmac_f32_e32 v19, 0x3f6c835e, v36
	;; [unrolled: 1-line block ×6, first 2 shown]
	v_lshlrev_b32_e32 v58, 4, v54
	s_waitcnt lgkmcnt(0)
	s_barrier
	buffer_gl0_inv
	s_and_saveexec_b32 s4, vcc_lo
	s_cbranch_execz .LBB0_7
; %bb.6:
	v_fma_f32 v6, v6, 2.0, -v15
	v_fma_f32 v11, v11, 2.0, -v37
	;; [unrolled: 1-line block ×7, first 2 shown]
	v_fmamk_f32 v31, v11, 0xbf6c835e, v6
	v_fmamk_f32 v30, v8, 0xbf6c835e, v2
	v_fma_f32 v1, v1, 2.0, -v9
	v_fma_f32 v5, v5, 2.0, -v29
	;; [unrolled: 1-line block ×4, first 2 shown]
	v_fmac_f32_e32 v31, 0x3ec3ef15, v8
	v_fmac_f32_e32 v30, 0xbec3ef15, v11
	v_sub_f32_e32 v29, v1, v5
	v_add_lshl_u32 v5, v55, v58, 3
	v_sub_f32_e32 v28, v0, v3
	v_fma_f32 v3, v6, 2.0, -v31
	v_fma_f32 v2, v2, 2.0, -v30
	;; [unrolled: 1-line block ×13, first 2 shown]
	ds_write_b128 v5, v[0:3]
	ds_write_b128 v5, v[12:15] offset:16
	ds_write_b128 v5, v[41:44] offset:32
	;; [unrolled: 1-line block ×7, first 2 shown]
.LBB0_7:
	s_or_b32 exec_lo, exec_lo, s4
	v_mad_u64_u32 v[28:29], null, 0x48, v54, s[2:3]
	s_load_dwordx4 s[0:3], s[0:1], 0x0
	s_waitcnt lgkmcnt(0)
	s_barrier
	buffer_gl0_inv
	v_lshlrev_b32_e32 v57, 3, v32
	v_lshl_add_u32 v56, v54, 3, v33
	s_clause 0x4
	global_load_dwordx4 v[12:15], v[28:29], off
	global_load_dwordx4 v[8:11], v[28:29], off offset:16
	global_load_dwordx4 v[4:7], v[28:29], off offset:32
	;; [unrolled: 1-line block ×3, first 2 shown]
	global_load_dwordx2 v[49:50], v[28:29], off offset:64
	ds_read2_b64 v[28:31], v57 offset1:16
	ds_read2_b64 v[34:37], v57 offset0:32 offset1:48
	ds_read2_b64 v[38:41], v57 offset0:64 offset1:80
	;; [unrolled: 1-line block ×4, first 2 shown]
	s_waitcnt vmcnt(4) lgkmcnt(4)
	v_mul_f32_e32 v32, v31, v13
	v_mul_f32_e32 v46, v30, v13
	s_waitcnt lgkmcnt(3)
	v_mul_f32_e32 v33, v35, v15
	v_mul_f32_e32 v47, v34, v15
	s_waitcnt vmcnt(3)
	v_mul_f32_e32 v51, v37, v9
	v_mul_f32_e32 v52, v36, v9
	s_waitcnt lgkmcnt(2)
	v_mul_f32_e32 v63, v39, v11
	v_mul_f32_e32 v64, v38, v11
	s_waitcnt vmcnt(2)
	;; [unrolled: 6-line block ×4, first 2 shown]
	v_mul_f32_e32 v73, v62, v50
	v_mul_f32_e32 v74, v61, v50
	v_fma_f32 v30, v30, v12, -v32
	v_fmac_f32_e32 v46, v31, v12
	v_fma_f32 v31, v34, v14, -v33
	v_fmac_f32_e32 v47, v35, v14
	;; [unrolled: 2-line block ×9, first 2 shown]
	v_add_f32_e32 v39, v28, v31
	v_add_f32_e32 v40, v33, v35
	v_sub_f32_e32 v41, v47, v72
	v_sub_f32_e32 v43, v31, v33
	;; [unrolled: 1-line block ×3, first 2 shown]
	v_add_f32_e32 v45, v31, v37
	v_sub_f32_e32 v51, v33, v31
	v_sub_f32_e32 v59, v35, v37
	v_add_f32_e32 v60, v29, v47
	v_add_f32_e32 v61, v64, v68
	v_sub_f32_e32 v63, v47, v64
	v_sub_f32_e32 v65, v72, v68
	v_add_f32_e32 v67, v47, v72
	v_sub_f32_e32 v47, v64, v47
	v_sub_f32_e32 v69, v68, v72
	v_add_f32_e32 v71, v30, v32
	v_add_f32_e32 v73, v34, v36
	;; [unrolled: 1-line block ×6, first 2 shown]
	v_sub_f32_e32 v62, v33, v35
	v_sub_f32_e32 v75, v52, v74
	;; [unrolled: 1-line block ×7, first 2 shown]
	v_add_f32_e32 v33, v39, v33
	v_fma_f32 v89, -0.5, v40, v28
	v_add_f32_e32 v39, v43, v44
	v_fma_f32 v43, -0.5, v45, v28
	v_add_f32_e32 v28, v51, v59
	v_add_f32_e32 v40, v60, v64
	v_fma_f32 v45, -0.5, v61, v29
	v_add_f32_e32 v44, v63, v65
	v_fma_f32 v59, -0.5, v67, v29
	v_add_f32_e32 v29, v47, v69
	v_add_f32_e32 v34, v71, v34
	v_fma_f32 v47, -0.5, v73, v30
	v_fmac_f32_e32 v30, -0.5, v79
	v_add_f32_e32 v61, v82, v66
	v_fma_f32 v63, -0.5, v83, v46
	v_fmac_f32_e32 v46, -0.5, v87
	v_sub_f32_e32 v42, v64, v68
	v_sub_f32_e32 v78, v38, v36
	;; [unrolled: 1-line block ×7, first 2 shown]
	v_add_f32_e32 v40, v40, v68
	v_add_f32_e32 v34, v34, v36
	v_fmamk_f32 v36, v75, 0x3f737871, v47
	v_fmac_f32_e32 v47, 0xbf737871, v75
	v_fmamk_f32 v68, v76, 0xbf737871, v30
	v_fmac_f32_e32 v30, 0x3f737871, v76
	v_add_f32_e32 v61, v61, v70
	v_fmamk_f32 v69, v32, 0xbf737871, v63
	v_fmac_f32_e32 v63, 0x3f737871, v32
	v_fmamk_f32 v70, v84, 0x3f737871, v46
	v_fmac_f32_e32 v46, 0xbf737871, v84
	v_sub_f32_e32 v31, v31, v37
	v_add_f32_e32 v51, v77, v78
	v_add_f32_e32 v60, v80, v81
	;; [unrolled: 1-line block ×5, first 2 shown]
	v_fmamk_f32 v65, v42, 0xbf737871, v43
	v_fmac_f32_e32 v43, 0x3f737871, v42
	v_fmamk_f32 v67, v62, 0x3f737871, v59
	v_fmac_f32_e32 v59, 0xbf737871, v62
	v_fmac_f32_e32 v36, 0x3f167918, v76
	;; [unrolled: 1-line block ×9, first 2 shown]
	v_fmamk_f32 v35, v41, 0x3f737871, v89
	v_fmac_f32_e32 v89, 0xbf737871, v41
	v_fmamk_f32 v66, v31, 0xbf737871, v45
	v_fmac_f32_e32 v45, 0x3f737871, v31
	v_add_f32_e32 v33, v33, v37
	v_fmac_f32_e32 v65, 0x3f167918, v41
	v_fmac_f32_e32 v43, 0xbf167918, v41
	v_add_f32_e32 v37, v40, v72
	v_fmac_f32_e32 v67, 0xbf167918, v31
	v_fmac_f32_e32 v59, 0x3f167918, v31
	v_add_f32_e32 v31, v34, v38
	v_add_f32_e32 v34, v61, v74
	v_fmac_f32_e32 v36, 0x3e9e377a, v51
	v_fmac_f32_e32 v47, 0x3e9e377a, v51
	;; [unrolled: 1-line block ×16, first 2 shown]
	v_add_f32_e32 v51, v33, v31
	v_add_f32_e32 v52, v37, v34
	v_sub_f32_e32 v32, v33, v31
	v_sub_f32_e32 v33, v37, v34
	v_mul_f32_e32 v34, 0x3f167918, v69
	v_mul_f32_e32 v40, 0x3f737871, v70
	v_mul_f32_e32 v28, 0x3e9e377a, v30
	v_mul_f32_e32 v29, 0x3f4f1bbd, v47
	v_mul_f32_e32 v41, 0xbf167918, v36
	v_mul_f32_e32 v60, 0xbf737871, v68
	v_mul_f32_e32 v31, 0x3e9e377a, v46
	v_mul_f32_e32 v37, 0x3f4f1bbd, v63
	v_fmac_f32_e32 v35, 0x3e9e377a, v39
	v_fmac_f32_e32 v89, 0x3e9e377a, v39
	v_fmac_f32_e32 v66, 0x3e9e377a, v44
	v_fmac_f32_e32 v45, 0x3e9e377a, v44
	v_fmac_f32_e32 v34, 0x3f4f1bbd, v36
	v_fmac_f32_e32 v40, 0x3e9e377a, v68
	v_fma_f32 v42, 0x3f737871, v46, -v28
	v_fma_f32 v44, 0x3f167918, v63, -v29
	v_fmac_f32_e32 v41, 0x3f4f1bbd, v69
	v_fmac_f32_e32 v60, 0x3e9e377a, v70
	v_fma_f32 v46, 0xbf737871, v30, -v31
	v_fma_f32 v47, 0xbf167918, v47, -v37
	v_add_f32_e32 v36, v35, v34
	v_add_f32_e32 v38, v65, v40
	v_add_f32_e32 v28, v43, v42
	v_add_f32_e32 v30, v89, v44
	v_add_f32_e32 v37, v66, v41
	v_add_f32_e32 v39, v67, v60
	v_add_f32_e32 v29, v59, v46
	v_add_f32_e32 v31, v45, v47
	v_sub_f32_e32 v34, v35, v34
	v_sub_f32_e32 v40, v65, v40
	v_sub_f32_e32 v42, v43, v42
	v_sub_f32_e32 v44, v89, v44
	v_sub_f32_e32 v35, v66, v41
	v_sub_f32_e32 v41, v67, v60
	v_sub_f32_e32 v43, v59, v46
	v_sub_f32_e32 v45, v45, v47
	ds_write2_b64 v57, v[51:52], v[36:37] offset1:16
	ds_write2_b64 v56, v[38:39], v[28:29] offset0:32 offset1:48
	ds_write2_b64 v56, v[30:31], v[32:33] offset0:64 offset1:80
	ds_write2_b64 v56, v[34:35], v[40:41] offset0:96 offset1:112
	ds_write2_b64 v56, v[42:43], v[44:45] offset0:128 offset1:144
	s_waitcnt lgkmcnt(0)
	s_barrier
	buffer_gl0_inv
	s_and_saveexec_b32 s8, vcc_lo
	s_cbranch_execz .LBB0_9
; %bb.8:
	global_load_dwordx2 v[46:47], v53, s[6:7] offset:1280
	s_add_u32 s4, s6, 0x500
	s_addc_u32 s5, s7, 0
	s_clause 0xe
	global_load_dwordx2 v[87:88], v53, s[4:5] offset:80
	global_load_dwordx2 v[89:90], v53, s[4:5] offset:160
	;; [unrolled: 1-line block ×15, first 2 shown]
	ds_read_b64 v[59:60], v57
	s_waitcnt vmcnt(15) lgkmcnt(0)
	v_mul_f32_e32 v61, v60, v47
	v_mul_f32_e32 v62, v59, v47
	v_fma_f32 v61, v59, v46, -v61
	v_fmac_f32_e32 v62, v60, v46
	ds_write_b64 v57, v[61:62]
	ds_read2_b64 v[59:62], v56 offset0:10 offset1:20
	ds_read2_b64 v[63:66], v56 offset0:30 offset1:40
	;; [unrolled: 1-line block ×7, first 2 shown]
	ds_read_b64 v[46:47], v56 offset:1200
	s_waitcnt vmcnt(14) lgkmcnt(7)
	v_mul_f32_e32 v118, v60, v88
	v_mul_f32_e32 v117, v59, v88
	s_waitcnt vmcnt(13)
	v_mul_f32_e32 v119, v62, v90
	v_mul_f32_e32 v88, v61, v90
	s_waitcnt vmcnt(12) lgkmcnt(6)
	v_mul_f32_e32 v120, v64, v92
	v_mul_f32_e32 v90, v63, v92
	s_waitcnt vmcnt(11)
	v_mul_f32_e32 v121, v66, v94
	v_mul_f32_e32 v92, v65, v94
	s_waitcnt vmcnt(10) lgkmcnt(5)
	v_mul_f32_e32 v122, v68, v96
	v_mul_f32_e32 v94, v67, v96
	s_waitcnt vmcnt(9)
	v_mul_f32_e32 v123, v70, v98
	v_mul_f32_e32 v96, v69, v98
	s_waitcnt vmcnt(8) lgkmcnt(4)
	v_mul_f32_e32 v124, v72, v100
	v_mul_f32_e32 v98, v71, v100
	s_waitcnt vmcnt(7)
	v_mul_f32_e32 v125, v74, v102
	v_mul_f32_e32 v100, v73, v102
	s_waitcnt vmcnt(6) lgkmcnt(3)
	v_mul_f32_e32 v126, v76, v104
	v_mul_f32_e32 v102, v75, v104
	s_waitcnt vmcnt(5)
	v_mul_f32_e32 v127, v78, v106
	v_mul_f32_e32 v104, v77, v106
	s_waitcnt vmcnt(4) lgkmcnt(2)
	v_mul_f32_e32 v128, v80, v108
	v_mul_f32_e32 v106, v79, v108
	s_waitcnt vmcnt(3)
	v_mul_f32_e32 v129, v82, v110
	v_mul_f32_e32 v108, v81, v110
	s_waitcnt vmcnt(2) lgkmcnt(1)
	v_mul_f32_e32 v130, v84, v112
	v_mul_f32_e32 v110, v83, v112
	s_waitcnt vmcnt(1)
	v_mul_f32_e32 v131, v86, v114
	v_mul_f32_e32 v112, v85, v114
	s_waitcnt vmcnt(0) lgkmcnt(0)
	v_mul_f32_e32 v132, v47, v116
	v_mul_f32_e32 v114, v46, v116
	v_fma_f32 v116, v59, v87, -v118
	v_fmac_f32_e32 v117, v60, v87
	v_fma_f32 v87, v61, v89, -v119
	v_fmac_f32_e32 v88, v62, v89
	;; [unrolled: 2-line block ×15, first 2 shown]
	ds_write2_b64 v56, v[116:117], v[87:88] offset0:10 offset1:20
	ds_write2_b64 v56, v[89:90], v[91:92] offset0:30 offset1:40
	;; [unrolled: 1-line block ×7, first 2 shown]
	ds_write_b64 v56, v[113:114] offset:1200
.LBB0_9:
	s_or_b32 exec_lo, exec_lo, s8
	s_waitcnt lgkmcnt(0)
	s_barrier
	buffer_gl0_inv
	s_and_saveexec_b32 s4, vcc_lo
	s_cbranch_execz .LBB0_11
; %bb.10:
	ds_read2_b64 v[16:19], v56 offset0:130 offset1:140
	ds_read2_b64 v[20:23], v56 offset0:110 offset1:120
	;; [unrolled: 1-line block ×7, first 2 shown]
	ds_read_b64 v[51:52], v57
	ds_read_b64 v[26:27], v56 offset:1200
	s_waitcnt lgkmcnt(8)
	v_mov_b32_e32 v24, v18
	v_mov_b32_e32 v25, v19
	;; [unrolled: 1-line block ×4, first 2 shown]
	s_waitcnt lgkmcnt(7)
	v_mov_b32_e32 v16, v22
	v_mov_b32_e32 v17, v23
	;; [unrolled: 1-line block ×4, first 2 shown]
	s_waitcnt lgkmcnt(6)
	v_mov_b32_e32 v20, v46
	v_mov_b32_e32 v21, v47
.LBB0_11:
	s_or_b32 exec_lo, exec_lo, s4
	s_waitcnt lgkmcnt(0)
	s_barrier
	buffer_gl0_inv
	s_and_saveexec_b32 s4, vcc_lo
	s_cbranch_execz .LBB0_13
; %bb.12:
	v_sub_f32_e32 v21, v39, v21
	v_sub_f32_e32 v24, v34, v24
	;; [unrolled: 1-line block ×20, first 2 shown]
	v_add_f32_e32 v63, v25, v20
	v_add_f32_e32 v68, v17, v42
	v_fma_f32 v52, v52, 2.0, -v43
	v_fma_f32 v17, v31, 2.0, -v17
	;; [unrolled: 1-line block ×8, first 2 shown]
	v_fmamk_f32 v62, v47, 0x3f3504f3, v45
	v_fmamk_f32 v64, v59, 0x3f3504f3, v60
	v_add_f32_e32 v65, v27, v22
	v_add_f32_e32 v66, v61, v44
	v_fmamk_f32 v69, v63, 0x3f3504f3, v68
	v_sub_f32_e32 v33, v52, v17
	v_sub_f32_e32 v24, v38, v24
	;; [unrolled: 1-line block ×4, first 2 shown]
	v_fma_f32 v29, v29, 2.0, -v46
	v_fma_f32 v17, v41, 2.0, -v27
	;; [unrolled: 1-line block ×4, first 2 shown]
	v_fmac_f32_e32 v62, 0xbf3504f3, v63
	v_fmac_f32_e32 v64, 0xbf3504f3, v65
	v_fmamk_f32 v67, v65, 0x3f3504f3, v66
	v_fmac_f32_e32 v69, 0x3f3504f3, v47
	v_fma_f32 v39, v39, 2.0, -v21
	v_fma_f32 v25, v35, 2.0, -v25
	;; [unrolled: 1-line block ×9, first 2 shown]
	v_sub_f32_e32 v32, v33, v24
	v_sub_f32_e32 v40, v37, v31
	v_sub_f32_e32 v41, v29, v17
	v_sub_f32_e32 v61, v36, v23
	v_fmamk_f32 v19, v64, 0x3f6c835e, v62
	v_fmac_f32_e32 v67, 0x3f3504f3, v59
	v_sub_f32_e32 v25, v39, v25
	v_fma_f32 v22, v22, 2.0, -v65
	v_fma_f32 v44, v44, 2.0, -v66
	;; [unrolled: 1-line block ×3, first 2 shown]
	v_fmamk_f32 v46, v21, 0xbf3504f3, v43
	v_fmamk_f32 v51, v26, 0xbf3504f3, v47
	;; [unrolled: 1-line block ×4, first 2 shown]
	v_add_f32_e32 v70, v41, v61
	v_fmac_f32_e32 v19, 0xbec3ef15, v67
	v_fmamk_f32 v59, v22, 0xbf3504f3, v44
	v_sub_f32_e32 v65, v35, v16
	v_fmac_f32_e32 v46, 0xbf3504f3, v20
	v_fmac_f32_e32 v51, 0xbf3504f3, v22
	;; [unrolled: 1-line block ×3, first 2 shown]
	v_fma_f32 v21, v39, 2.0, -v25
	v_fma_f32 v39, v45, 2.0, -v62
	;; [unrolled: 1-line block ×3, first 2 shown]
	v_fmamk_f32 v18, v67, 0x3f6c835e, v69
	v_fmac_f32_e32 v17, 0xbf3504f3, v70
	v_fma_f32 v52, v52, 2.0, -v33
	v_fma_f32 v23, v62, 2.0, -v19
	v_fmac_f32_e32 v59, 0x3f3504f3, v26
	v_add_f32_e32 v20, v25, v65
	v_fmamk_f32 v27, v51, 0x3ec3ef15, v46
	v_fma_f32 v36, v36, 2.0, -v61
	v_fma_f32 v25, v28, 2.0, -v31
	;; [unrolled: 1-line block ×5, first 2 shown]
	v_fmamk_f32 v35, v45, 0xbec3ef15, v39
	v_fma_f32 v34, v66, 2.0, -v67
	v_fma_f32 v38, v68, 2.0, -v69
	v_fmac_f32_e32 v18, 0x3ec3ef15, v64
	v_sub_f32_e32 v28, v52, v21
	v_fma_f32 v21, v32, 2.0, -v17
	v_fma_f32 v32, v33, 2.0, -v32
	;; [unrolled: 1-line block ×3, first 2 shown]
	v_fmamk_f32 v26, v59, 0x3ec3ef15, v63
	v_fmamk_f32 v16, v70, 0x3f3504f3, v20
	v_fmac_f32_e32 v27, 0xbf6c835e, v59
	v_sub_f32_e32 v71, v36, v25
	v_fma_f32 v29, v29, 2.0, -v41
	v_fmac_f32_e32 v35, 0xbf6c835e, v34
	v_fmamk_f32 v34, v34, 0xbec3ef15, v38
	v_fmamk_f32 v33, v64, 0xbf3504f3, v32
	v_fma_f32 v41, v61, 2.0, -v70
	v_fmac_f32_e32 v26, 0x3f6c835e, v51
	v_fmac_f32_e32 v16, 0x3f3504f3, v40
	v_fma_f32 v31, v46, 2.0, -v27
	v_sub_f32_e32 v25, v28, v71
	v_sub_f32_e32 v66, v60, v24
	;; [unrolled: 1-line block ×3, first 2 shown]
	v_fmac_f32_e32 v34, 0x3f6c835e, v45
	v_fma_f32 v45, v43, 2.0, -v46
	v_fma_f32 v46, v47, 2.0, -v51
	;; [unrolled: 1-line block ×4, first 2 shown]
	v_fmac_f32_e32 v33, 0xbf3504f3, v41
	v_fma_f32 v59, v65, 2.0, -v20
	v_fma_f32 v29, v28, 2.0, -v25
	v_add_f32_e32 v24, v40, v66
	v_fmamk_f32 v43, v46, 0xbf6c835e, v45
	v_fmamk_f32 v42, v44, 0xbf6c835e, v51
	v_fma_f32 v28, v52, 2.0, -v28
	v_fma_f32 v40, v62, 2.0, -v40
	;; [unrolled: 1-line block ×5, first 2 shown]
	v_fmamk_f32 v32, v41, 0xbf3504f3, v59
	v_fmac_f32_e32 v43, 0xbec3ef15, v44
	v_fmac_f32_e32 v42, 0x3ec3ef15, v46
	v_sub_f32_e32 v41, v28, v40
	v_sub_f32_e32 v40, v52, v36
	v_fmac_f32_e32 v32, 0x3f3504f3, v64
	v_fma_f32 v47, v45, 2.0, -v43
	v_fma_f32 v46, v51, 2.0, -v42
	;; [unrolled: 1-line block ×4, first 2 shown]
	v_add_lshl_u32 v51, v55, v58, 3
	v_fma_f32 v39, v39, 2.0, -v35
	v_fma_f32 v38, v38, 2.0, -v34
	;; [unrolled: 1-line block ×7, first 2 shown]
	ds_write_b128 v51, v[44:47]
	ds_write_b128 v51, v[36:39] offset:16
	ds_write_b128 v51, v[28:31] offset:32
	ds_write_b128 v51, v[20:23] offset:48
	ds_write_b128 v51, v[40:43] offset:64
	ds_write_b128 v51, v[32:35] offset:80
	ds_write_b128 v51, v[24:27] offset:96
	ds_write_b128 v51, v[16:19] offset:112
.LBB0_13:
	s_or_b32 exec_lo, exec_lo, s4
	s_waitcnt lgkmcnt(0)
	s_barrier
	buffer_gl0_inv
	ds_read2_b64 v[16:19], v57 offset1:16
	ds_read2_b64 v[20:23], v57 offset0:32 offset1:48
	ds_read2_b64 v[24:27], v57 offset0:64 offset1:80
	;; [unrolled: 1-line block ×4, first 2 shown]
	s_waitcnt lgkmcnt(4)
	v_mul_f32_e32 v36, v13, v19
	s_waitcnt lgkmcnt(3)
	v_mul_f32_e32 v38, v9, v23
	v_mul_f32_e32 v9, v9, v22
	s_waitcnt lgkmcnt(2)
	v_mul_f32_e32 v39, v11, v25
	v_mul_f32_e32 v11, v11, v24
	;; [unrolled: 1-line block ×5, first 2 shown]
	v_fmac_f32_e32 v38, v8, v22
	v_fma_f32 v8, v8, v23, -v9
	v_fmac_f32_e32 v39, v10, v24
	v_fma_f32 v9, v10, v25, -v11
	s_waitcnt lgkmcnt(1)
	v_mul_f32_e32 v10, v7, v29
	v_mul_f32_e32 v13, v13, v18
	;; [unrolled: 1-line block ×3, first 2 shown]
	v_fmac_f32_e32 v37, v14, v20
	v_fmac_f32_e32 v40, v4, v26
	v_mul_f32_e32 v7, v7, v28
	v_fma_f32 v4, v4, v27, -v5
	v_fmac_f32_e32 v10, v6, v28
	s_waitcnt lgkmcnt(0)
	v_mul_f32_e32 v5, v3, v32
	v_mul_f32_e32 v3, v3, v33
	v_fmac_f32_e32 v36, v12, v18
	v_fma_f32 v12, v12, v19, -v13
	v_fma_f32 v13, v14, v21, -v15
	v_mul_f32_e32 v11, v1, v31
	v_fma_f32 v6, v6, v29, -v7
	v_mul_f32_e32 v1, v1, v30
	v_add_f32_e32 v7, v39, v10
	v_fma_f32 v5, v2, v33, -v5
	v_add_f32_e32 v15, v16, v37
	v_fmac_f32_e32 v3, v2, v32
	v_fmac_f32_e32 v11, v0, v30
	v_fma_f32 v18, -0.5, v7, v16
	v_sub_f32_e32 v7, v13, v5
	v_fma_f32 v0, v0, v31, -v1
	v_add_f32_e32 v1, v15, v39
	v_add_f32_e32 v21, v37, v3
	v_sub_f32_e32 v2, v9, v6
	v_fmamk_f32 v15, v7, 0xbf737871, v18
	v_sub_f32_e32 v19, v37, v39
	v_sub_f32_e32 v20, v3, v10
	v_mul_f32_e32 v22, v50, v34
	v_add_f32_e32 v1, v1, v10
	v_fma_f32 v16, -0.5, v21, v16
	v_fmac_f32_e32 v18, 0x3f737871, v7
	v_add_f32_e32 v24, v17, v13
	v_fmac_f32_e32 v15, 0xbf167918, v2
	v_add_f32_e32 v19, v19, v20
	v_fma_f32 v20, v49, v35, -v22
	v_add_f32_e32 v21, v1, v3
	v_fmamk_f32 v22, v2, 0x3f737871, v16
	v_sub_f32_e32 v1, v39, v37
	v_sub_f32_e32 v23, v10, v3
	v_fmac_f32_e32 v18, 0x3f167918, v2
	v_add_f32_e32 v25, v9, v6
	v_fmac_f32_e32 v16, 0xbf737871, v2
	v_add_f32_e32 v2, v24, v9
	;; [unrolled: 2-line block ×3, first 2 shown]
	v_fma_f32 v23, -0.5, v25, v17
	v_sub_f32_e32 v3, v37, v3
	v_fmac_f32_e32 v16, 0x3f167918, v7
	v_add_f32_e32 v2, v2, v6
	v_add_f32_e32 v7, v13, v5
	v_mul_f32_e32 v14, v50, v35
	v_fmac_f32_e32 v15, 0x3e9e377a, v19
	v_fmac_f32_e32 v18, 0x3e9e377a, v19
	v_fmamk_f32 v19, v3, 0x3f737871, v23
	v_sub_f32_e32 v10, v39, v10
	v_sub_f32_e32 v24, v13, v9
	;; [unrolled: 1-line block ×3, first 2 shown]
	v_fma_f32 v17, -0.5, v7, v17
	v_add_f32_e32 v26, v2, v5
	v_fmac_f32_e32 v23, 0xbf737871, v3
	v_sub_f32_e32 v2, v9, v13
	v_sub_f32_e32 v5, v6, v5
	v_add_f32_e32 v6, v36, v38
	v_fmac_f32_e32 v14, v49, v34
	v_fmac_f32_e32 v22, 0x3e9e377a, v1
	;; [unrolled: 1-line block ×4, first 2 shown]
	v_add_f32_e32 v1, v24, v25
	v_fmamk_f32 v24, v10, 0xbf737871, v17
	v_fmac_f32_e32 v23, 0xbf167918, v10
	v_add_f32_e32 v2, v2, v5
	v_fmac_f32_e32 v17, 0x3f737871, v10
	v_add_f32_e32 v5, v6, v40
	v_add_f32_e32 v6, v40, v11
	v_fmac_f32_e32 v19, 0x3e9e377a, v1
	v_fmac_f32_e32 v24, 0x3f167918, v3
	;; [unrolled: 1-line block ×4, first 2 shown]
	v_add_f32_e32 v1, v5, v11
	v_fma_f32 v3, -0.5, v6, v36
	v_add_f32_e32 v5, v38, v14
	v_sub_f32_e32 v6, v8, v20
	v_fmac_f32_e32 v24, 0x3e9e377a, v2
	v_fmac_f32_e32 v17, 0x3e9e377a, v2
	v_add_f32_e32 v10, v1, v14
	v_sub_f32_e32 v1, v4, v0
	v_fmac_f32_e32 v36, -0.5, v5
	v_fmamk_f32 v5, v6, 0xbf737871, v3
	v_sub_f32_e32 v2, v38, v40
	v_sub_f32_e32 v7, v14, v11
	v_fmac_f32_e32 v3, 0x3f737871, v6
	v_fmamk_f32 v9, v1, 0x3f737871, v36
	v_fmac_f32_e32 v5, 0xbf167918, v1
	v_sub_f32_e32 v13, v40, v38
	v_add_f32_e32 v2, v2, v7
	v_fmac_f32_e32 v3, 0x3f167918, v1
	v_sub_f32_e32 v25, v11, v14
	v_fmac_f32_e32 v36, 0xbf737871, v1
	v_add_f32_e32 v1, v4, v0
	v_fmac_f32_e32 v5, 0x3e9e377a, v2
	v_fmac_f32_e32 v3, 0x3e9e377a, v2
	v_add_f32_e32 v2, v8, v20
	v_fmac_f32_e32 v9, 0xbf167918, v6
	v_add_f32_e32 v7, v13, v25
	v_fmac_f32_e32 v36, 0x3f167918, v6
	v_fma_f32 v1, -0.5, v1, v12
	v_sub_f32_e32 v6, v38, v14
	v_add_f32_e32 v13, v12, v8
	v_sub_f32_e32 v11, v40, v11
	v_fmac_f32_e32 v12, -0.5, v2
	v_fmac_f32_e32 v9, 0x3e9e377a, v7
	v_fmac_f32_e32 v36, 0x3e9e377a, v7
	v_fmamk_f32 v7, v6, 0x3f737871, v1
	v_sub_f32_e32 v2, v8, v4
	v_sub_f32_e32 v14, v20, v0
	v_fmamk_f32 v25, v11, 0xbf737871, v12
	v_sub_f32_e32 v8, v4, v8
	v_sub_f32_e32 v27, v0, v20
	v_fmac_f32_e32 v12, 0x3f737871, v11
	v_fmac_f32_e32 v1, 0xbf737871, v6
	;; [unrolled: 1-line block ×3, first 2 shown]
	v_add_f32_e32 v2, v2, v14
	v_fmac_f32_e32 v25, 0x3f167918, v6
	v_add_f32_e32 v8, v8, v27
	v_fmac_f32_e32 v12, 0xbf167918, v6
	v_fmac_f32_e32 v1, 0xbf167918, v11
	v_add_f32_e32 v4, v13, v4
	v_fmac_f32_e32 v7, 0x3e9e377a, v2
	v_fmac_f32_e32 v25, 0x3e9e377a, v8
	;; [unrolled: 1-line block ×4, first 2 shown]
	v_add_f32_e32 v0, v4, v0
	v_mul_f32_e32 v11, 0xbf167918, v7
	v_mul_f32_e32 v29, 0x3f4f1bbd, v7
	;; [unrolled: 1-line block ×8, first 2 shown]
	v_add_f32_e32 v20, v0, v20
	v_fmac_f32_e32 v11, 0x3f4f1bbd, v5
	v_fmac_f32_e32 v29, 0x3f167918, v5
	;; [unrolled: 1-line block ×8, first 2 shown]
	v_add_f32_e32 v0, v21, v10
	v_add_f32_e32 v2, v15, v11
	;; [unrolled: 1-line block ×10, first 2 shown]
	v_sub_f32_e32 v10, v21, v10
	v_sub_f32_e32 v12, v15, v11
	;; [unrolled: 1-line block ×10, first 2 shown]
	ds_write2_b64 v57, v[0:1], v[2:3] offset1:16
	ds_write2_b64 v56, v[4:5], v[6:7] offset0:32 offset1:48
	ds_write2_b64 v56, v[8:9], v[10:11] offset0:64 offset1:80
	;; [unrolled: 1-line block ×4, first 2 shown]
	s_waitcnt lgkmcnt(0)
	s_barrier
	buffer_gl0_inv
	s_and_b32 exec_lo, exec_lo, vcc_lo
	s_cbranch_execz .LBB0_15
; %bb.14:
	s_clause 0xb
	global_load_dwordx2 v[24:25], v53, s[6:7]
	global_load_dwordx2 v[26:27], v53, s[6:7] offset:80
	global_load_dwordx2 v[28:29], v53, s[6:7] offset:160
	;; [unrolled: 1-line block ×11, first 2 shown]
	v_mad_u64_u32 v[0:1], null, s2, v48, 0
	v_mad_u64_u32 v[2:3], null, s0, v54, 0
	ds_read2_b64 v[8:11], v56 offset0:50 offset1:60
	ds_read2_b64 v[12:15], v56 offset0:70 offset1:80
	ds_read2_b64 v[16:19], v56 offset0:90 offset1:100
	ds_read2_b64 v[20:23], v56 offset0:110 offset1:120
	ds_read_b64 v[71:72], v56 offset:1200
	s_mul_i32 s2, s0, 0x50
	v_mad_u64_u32 v[4:5], null, s3, v48, v[1:2]
	ds_read_b64 v[48:49], v57
	s_mul_hi_u32 s3, s0, 0x50
	v_mad_u64_u32 v[5:6], null, s1, v54, v[3:4]
	v_mov_b32_e32 v1, v4
	s_mulk_i32 s1, 0x50
	s_add_i32 s3, s3, s1
	s_mov_b32 s0, 0x9999999a
	v_lshlrev_b64 v[0:1], 3, v[0:1]
	v_mov_b32_e32 v3, v5
	ds_read2_b64 v[4:7], v56 offset0:30 offset1:40
	s_mov_b32 s1, 0x3f799999
	v_lshlrev_b64 v[2:3], 3, v[2:3]
	v_add_co_u32 v0, vcc_lo, s12, v0
	v_add_co_ci_u32_e32 v1, vcc_lo, s13, v1, vcc_lo
	v_add_co_u32 v50, vcc_lo, v0, v2
	v_add_co_ci_u32_e32 v51, vcc_lo, v1, v3, vcc_lo
	ds_read2_b64 v[0:3], v56 offset0:10 offset1:20
	v_add_co_u32 v54, vcc_lo, v50, s2
	v_add_co_ci_u32_e32 v55, vcc_lo, s3, v51, vcc_lo
	v_add_co_u32 v57, vcc_lo, v54, s2
	v_add_co_ci_u32_e32 v58, vcc_lo, s3, v55, vcc_lo
	;; [unrolled: 2-line block ×9, first 2 shown]
	s_waitcnt vmcnt(11) lgkmcnt(2)
	v_mul_f32_e32 v52, v49, v25
	v_mul_f32_e32 v25, v48, v25
	s_waitcnt vmcnt(10) lgkmcnt(0)
	v_mul_f32_e32 v75, v1, v27
	v_mul_f32_e32 v27, v0, v27
	s_waitcnt vmcnt(9)
	v_mul_f32_e32 v76, v3, v29
	v_mul_f32_e32 v29, v2, v29
	s_waitcnt vmcnt(8)
	;; [unrolled: 3-line block ×4, first 2 shown]
	v_mul_f32_e32 v79, v9, v35
	v_mul_f32_e32 v35, v8, v35
	v_fmac_f32_e32 v52, v48, v24
	v_fma_f32 v24, v24, v49, -v25
	s_waitcnt vmcnt(5)
	v_mul_f32_e32 v80, v11, v37
	v_mul_f32_e32 v37, v10, v37
	v_fmac_f32_e32 v75, v0, v26
	v_fma_f32 v25, v26, v1, -v27
	s_waitcnt vmcnt(4)
	;; [unrolled: 5-line block ×4, first 2 shown]
	v_mul_f32_e32 v83, v17, v43
	v_mul_f32_e32 v43, v16, v43
	s_waitcnt vmcnt(1)
	v_mul_f32_e32 v84, v19, v45
	v_mul_f32_e32 v45, v18, v45
	v_fmac_f32_e32 v78, v6, v32
	v_fma_f32 v28, v32, v7, -v33
	s_waitcnt vmcnt(0)
	v_mul_f32_e32 v85, v21, v47
	v_mul_f32_e32 v47, v20, v47
	v_fmac_f32_e32 v79, v8, v34
	v_fma_f32 v29, v34, v9, -v35
	v_cvt_f64_f32_e32 v[0:1], v52
	v_cvt_f64_f32_e32 v[2:3], v24
	v_fmac_f32_e32 v80, v10, v36
	v_fma_f32 v30, v36, v11, -v37
	v_cvt_f64_f32_e32 v[4:5], v75
	v_cvt_f64_f32_e32 v[6:7], v25
	;; [unrolled: 4-line block ×4, first 2 shown]
	v_fmac_f32_e32 v83, v16, v42
	v_fma_f32 v40, v42, v17, -v43
	v_fmac_f32_e32 v84, v18, v44
	v_fma_f32 v44, v44, v19, -v45
	v_cvt_f64_f32_e32 v[16:17], v78
	v_cvt_f64_f32_e32 v[18:19], v28
	v_fmac_f32_e32 v85, v20, v46
	v_fma_f32 v48, v46, v21, -v47
	v_cvt_f64_f32_e32 v[20:21], v79
	v_cvt_f64_f32_e32 v[24:25], v29
	;; [unrolled: 1-line block ×14, first 2 shown]
	v_mul_f64 v[0:1], v[0:1], s[0:1]
	v_mul_f64 v[2:3], v[2:3], s[0:1]
	;; [unrolled: 1-line block ×24, first 2 shown]
	v_cvt_f32_f64_e32 v0, v[0:1]
	v_cvt_f32_f64_e32 v1, v[2:3]
	;; [unrolled: 1-line block ×24, first 2 shown]
	v_add_co_u32 v26, vcc_lo, v73, s2
	v_add_co_ci_u32_e32 v27, vcc_lo, s3, v74, vcc_lo
	v_add_co_u32 v28, vcc_lo, v26, s2
	v_add_co_ci_u32_e32 v29, vcc_lo, s3, v27, vcc_lo
	global_store_dwordx2 v[50:51], v[0:1], off
	global_store_dwordx2 v[54:55], v[2:3], off
	;; [unrolled: 1-line block ×12, first 2 shown]
	global_load_dwordx2 v[0:1], v53, s[6:7] offset:960
	v_add_co_u32 v4, vcc_lo, v28, s2
	v_add_co_ci_u32_e32 v5, vcc_lo, s3, v29, vcc_lo
	s_waitcnt vmcnt(0)
	v_mul_f32_e32 v2, v23, v1
	v_mul_f32_e32 v1, v22, v1
	v_fmac_f32_e32 v2, v22, v0
	v_fma_f32 v3, v0, v23, -v1
	v_cvt_f64_f32_e32 v[0:1], v2
	v_cvt_f64_f32_e32 v[2:3], v3
	v_mul_f64 v[0:1], v[0:1], s[0:1]
	v_mul_f64 v[2:3], v[2:3], s[0:1]
	v_cvt_f32_f64_e32 v0, v[0:1]
	v_cvt_f32_f64_e32 v1, v[2:3]
	global_store_dwordx2 v[4:5], v[0:1], off
	global_load_dwordx2 v[6:7], v53, s[6:7] offset:1040
	ds_read2_b64 v[0:3], v56 offset0:130 offset1:140
	v_add_co_u32 v4, vcc_lo, v4, s2
	v_add_co_ci_u32_e32 v5, vcc_lo, s3, v5, vcc_lo
	s_waitcnt vmcnt(0) lgkmcnt(0)
	v_mul_f32_e32 v8, v1, v7
	v_mul_f32_e32 v7, v0, v7
	v_fmac_f32_e32 v8, v0, v6
	v_fma_f32 v6, v6, v1, -v7
	v_cvt_f64_f32_e32 v[0:1], v8
	v_cvt_f64_f32_e32 v[6:7], v6
	v_mul_f64 v[0:1], v[0:1], s[0:1]
	v_mul_f64 v[6:7], v[6:7], s[0:1]
	v_cvt_f32_f64_e32 v0, v[0:1]
	v_cvt_f32_f64_e32 v1, v[6:7]
	global_store_dwordx2 v[4:5], v[0:1], off
	global_load_dwordx2 v[0:1], v53, s[6:7] offset:1120
	s_waitcnt vmcnt(0)
	v_mul_f32_e32 v6, v3, v1
	v_mul_f32_e32 v1, v2, v1
	v_fmac_f32_e32 v6, v2, v0
	v_fma_f32 v2, v0, v3, -v1
	v_cvt_f64_f32_e32 v[0:1], v6
	v_cvt_f64_f32_e32 v[2:3], v2
	v_mul_f64 v[0:1], v[0:1], s[0:1]
	v_mul_f64 v[2:3], v[2:3], s[0:1]
	v_cvt_f32_f64_e32 v0, v[0:1]
	v_cvt_f32_f64_e32 v1, v[2:3]
	v_add_co_u32 v2, vcc_lo, v4, s2
	v_add_co_ci_u32_e32 v3, vcc_lo, s3, v5, vcc_lo
	global_store_dwordx2 v[2:3], v[0:1], off
	global_load_dwordx2 v[0:1], v53, s[6:7] offset:1200
	v_add_co_u32 v2, vcc_lo, v2, s2
	v_add_co_ci_u32_e32 v3, vcc_lo, s3, v3, vcc_lo
	s_waitcnt vmcnt(0)
	v_mul_f32_e32 v4, v72, v1
	v_mul_f32_e32 v1, v71, v1
	v_fmac_f32_e32 v4, v71, v0
	v_fma_f32 v5, v0, v72, -v1
	v_cvt_f64_f32_e32 v[0:1], v4
	v_cvt_f64_f32_e32 v[4:5], v5
	v_mul_f64 v[0:1], v[0:1], s[0:1]
	v_mul_f64 v[4:5], v[4:5], s[0:1]
	v_cvt_f32_f64_e32 v0, v[0:1]
	v_cvt_f32_f64_e32 v1, v[4:5]
	global_store_dwordx2 v[2:3], v[0:1], off
.LBB0_15:
	s_endpgm
	.section	.rodata,"a",@progbits
	.p2align	6, 0x0
	.amdhsa_kernel bluestein_single_fwd_len160_dim1_sp_op_CI_CI
		.amdhsa_group_segment_fixed_size 20480
		.amdhsa_private_segment_fixed_size 0
		.amdhsa_kernarg_size 104
		.amdhsa_user_sgpr_count 6
		.amdhsa_user_sgpr_private_segment_buffer 1
		.amdhsa_user_sgpr_dispatch_ptr 0
		.amdhsa_user_sgpr_queue_ptr 0
		.amdhsa_user_sgpr_kernarg_segment_ptr 1
		.amdhsa_user_sgpr_dispatch_id 0
		.amdhsa_user_sgpr_flat_scratch_init 0
		.amdhsa_user_sgpr_private_segment_size 0
		.amdhsa_wavefront_size32 1
		.amdhsa_uses_dynamic_stack 0
		.amdhsa_system_sgpr_private_segment_wavefront_offset 0
		.amdhsa_system_sgpr_workgroup_id_x 1
		.amdhsa_system_sgpr_workgroup_id_y 0
		.amdhsa_system_sgpr_workgroup_id_z 0
		.amdhsa_system_sgpr_workgroup_info 0
		.amdhsa_system_vgpr_workitem_id 0
		.amdhsa_next_free_vgpr 133
		.amdhsa_next_free_sgpr 14
		.amdhsa_reserve_vcc 1
		.amdhsa_reserve_flat_scratch 0
		.amdhsa_float_round_mode_32 0
		.amdhsa_float_round_mode_16_64 0
		.amdhsa_float_denorm_mode_32 3
		.amdhsa_float_denorm_mode_16_64 3
		.amdhsa_dx10_clamp 1
		.amdhsa_ieee_mode 1
		.amdhsa_fp16_overflow 0
		.amdhsa_workgroup_processor_mode 1
		.amdhsa_memory_ordered 1
		.amdhsa_forward_progress 0
		.amdhsa_shared_vgpr_count 0
		.amdhsa_exception_fp_ieee_invalid_op 0
		.amdhsa_exception_fp_denorm_src 0
		.amdhsa_exception_fp_ieee_div_zero 0
		.amdhsa_exception_fp_ieee_overflow 0
		.amdhsa_exception_fp_ieee_underflow 0
		.amdhsa_exception_fp_ieee_inexact 0
		.amdhsa_exception_int_div_zero 0
	.end_amdhsa_kernel
	.text
.Lfunc_end0:
	.size	bluestein_single_fwd_len160_dim1_sp_op_CI_CI, .Lfunc_end0-bluestein_single_fwd_len160_dim1_sp_op_CI_CI
                                        ; -- End function
	.section	.AMDGPU.csdata,"",@progbits
; Kernel info:
; codeLenInByte = 8436
; NumSgprs: 16
; NumVgprs: 133
; ScratchSize: 0
; MemoryBound: 0
; FloatMode: 240
; IeeeMode: 1
; LDSByteSize: 20480 bytes/workgroup (compile time only)
; SGPRBlocks: 1
; VGPRBlocks: 16
; NumSGPRsForWavesPerEU: 16
; NumVGPRsForWavesPerEU: 133
; Occupancy: 7
; WaveLimiterHint : 1
; COMPUTE_PGM_RSRC2:SCRATCH_EN: 0
; COMPUTE_PGM_RSRC2:USER_SGPR: 6
; COMPUTE_PGM_RSRC2:TRAP_HANDLER: 0
; COMPUTE_PGM_RSRC2:TGID_X_EN: 1
; COMPUTE_PGM_RSRC2:TGID_Y_EN: 0
; COMPUTE_PGM_RSRC2:TGID_Z_EN: 0
; COMPUTE_PGM_RSRC2:TIDIG_COMP_CNT: 0
	.text
	.p2alignl 6, 3214868480
	.fill 48, 4, 3214868480
	.type	__hip_cuid_d0769f2847f1c360,@object ; @__hip_cuid_d0769f2847f1c360
	.section	.bss,"aw",@nobits
	.globl	__hip_cuid_d0769f2847f1c360
__hip_cuid_d0769f2847f1c360:
	.byte	0                               ; 0x0
	.size	__hip_cuid_d0769f2847f1c360, 1

	.ident	"AMD clang version 19.0.0git (https://github.com/RadeonOpenCompute/llvm-project roc-6.4.0 25133 c7fe45cf4b819c5991fe208aaa96edf142730f1d)"
	.section	".note.GNU-stack","",@progbits
	.addrsig
	.addrsig_sym __hip_cuid_d0769f2847f1c360
	.amdgpu_metadata
---
amdhsa.kernels:
  - .args:
      - .actual_access:  read_only
        .address_space:  global
        .offset:         0
        .size:           8
        .value_kind:     global_buffer
      - .actual_access:  read_only
        .address_space:  global
        .offset:         8
        .size:           8
        .value_kind:     global_buffer
      - .actual_access:  read_only
        .address_space:  global
        .offset:         16
        .size:           8
        .value_kind:     global_buffer
      - .actual_access:  read_only
        .address_space:  global
        .offset:         24
        .size:           8
        .value_kind:     global_buffer
      - .actual_access:  read_only
        .address_space:  global
        .offset:         32
        .size:           8
        .value_kind:     global_buffer
      - .offset:         40
        .size:           8
        .value_kind:     by_value
      - .address_space:  global
        .offset:         48
        .size:           8
        .value_kind:     global_buffer
      - .address_space:  global
        .offset:         56
        .size:           8
        .value_kind:     global_buffer
      - .address_space:  global
        .offset:         64
        .size:           8
        .value_kind:     global_buffer
      - .address_space:  global
        .offset:         72
        .size:           8
        .value_kind:     global_buffer
      - .offset:         80
        .size:           4
        .value_kind:     by_value
      - .address_space:  global
        .offset:         88
        .size:           8
        .value_kind:     global_buffer
      - .address_space:  global
        .offset:         96
        .size:           8
        .value_kind:     global_buffer
    .group_segment_fixed_size: 20480
    .kernarg_segment_align: 8
    .kernarg_segment_size: 104
    .language:       OpenCL C
    .language_version:
      - 2
      - 0
    .max_flat_workgroup_size: 256
    .name:           bluestein_single_fwd_len160_dim1_sp_op_CI_CI
    .private_segment_fixed_size: 0
    .sgpr_count:     16
    .sgpr_spill_count: 0
    .symbol:         bluestein_single_fwd_len160_dim1_sp_op_CI_CI.kd
    .uniform_work_group_size: 1
    .uses_dynamic_stack: false
    .vgpr_count:     133
    .vgpr_spill_count: 0
    .wavefront_size: 32
    .workgroup_processor_mode: 1
amdhsa.target:   amdgcn-amd-amdhsa--gfx1030
amdhsa.version:
  - 1
  - 2
...

	.end_amdgpu_metadata
